;; amdgpu-corpus repo=ROCm/rocFFT kind=compiled arch=gfx1030 opt=O3
	.text
	.amdgcn_target "amdgcn-amd-amdhsa--gfx1030"
	.amdhsa_code_object_version 6
	.protected	fft_rtc_back_len1080_factors_6_10_6_3_wgs_216_tpt_108_halfLds_dp_op_CI_CI_unitstride_sbrr_C2R_dirReg ; -- Begin function fft_rtc_back_len1080_factors_6_10_6_3_wgs_216_tpt_108_halfLds_dp_op_CI_CI_unitstride_sbrr_C2R_dirReg
	.globl	fft_rtc_back_len1080_factors_6_10_6_3_wgs_216_tpt_108_halfLds_dp_op_CI_CI_unitstride_sbrr_C2R_dirReg
	.p2align	8
	.type	fft_rtc_back_len1080_factors_6_10_6_3_wgs_216_tpt_108_halfLds_dp_op_CI_CI_unitstride_sbrr_C2R_dirReg,@function
fft_rtc_back_len1080_factors_6_10_6_3_wgs_216_tpt_108_halfLds_dp_op_CI_CI_unitstride_sbrr_C2R_dirReg: ; @fft_rtc_back_len1080_factors_6_10_6_3_wgs_216_tpt_108_halfLds_dp_op_CI_CI_unitstride_sbrr_C2R_dirReg
; %bb.0:
	s_clause 0x2
	s_load_dwordx4 s[12:15], s[4:5], 0x0
	s_load_dwordx4 s[8:11], s[4:5], 0x58
	;; [unrolled: 1-line block ×3, first 2 shown]
	v_mul_u32_u24_e32 v1, 0x25f, v0
	v_mov_b32_e32 v3, 0
	v_lshrrev_b32_e32 v7, 16, v1
	v_mov_b32_e32 v1, 0
	v_mov_b32_e32 v6, v3
	v_mov_b32_e32 v2, 0
	v_lshl_add_u32 v5, s6, 1, v7
	s_waitcnt lgkmcnt(0)
	v_cmp_lt_u64_e64 s0, s[14:15], 2
	s_and_b32 vcc_lo, exec_lo, s0
	s_cbranch_vccnz .LBB0_8
; %bb.1:
	s_load_dwordx2 s[0:1], s[4:5], 0x10
	v_mov_b32_e32 v1, 0
	v_mov_b32_e32 v2, 0
	s_add_u32 s2, s18, 8
	s_addc_u32 s3, s19, 0
	s_add_u32 s6, s16, 8
	s_addc_u32 s7, s17, 0
	v_mov_b32_e32 v49, v2
	v_mov_b32_e32 v48, v1
	s_mov_b64 s[22:23], 1
	s_waitcnt lgkmcnt(0)
	s_add_u32 s20, s0, 8
	s_addc_u32 s21, s1, 0
.LBB0_2:                                ; =>This Inner Loop Header: Depth=1
	s_load_dwordx2 s[24:25], s[20:21], 0x0
                                        ; implicit-def: $vgpr50_vgpr51
	s_mov_b32 s0, exec_lo
	s_waitcnt lgkmcnt(0)
	v_or_b32_e32 v4, s25, v6
	v_cmpx_ne_u64_e32 0, v[3:4]
	s_xor_b32 s1, exec_lo, s0
	s_cbranch_execz .LBB0_4
; %bb.3:                                ;   in Loop: Header=BB0_2 Depth=1
	v_cvt_f32_u32_e32 v4, s24
	v_cvt_f32_u32_e32 v8, s25
	s_sub_u32 s0, 0, s24
	s_subb_u32 s26, 0, s25
	v_fmac_f32_e32 v4, 0x4f800000, v8
	v_rcp_f32_e32 v4, v4
	v_mul_f32_e32 v4, 0x5f7ffffc, v4
	v_mul_f32_e32 v8, 0x2f800000, v4
	v_trunc_f32_e32 v8, v8
	v_fmac_f32_e32 v4, 0xcf800000, v8
	v_cvt_u32_f32_e32 v8, v8
	v_cvt_u32_f32_e32 v4, v4
	v_mul_lo_u32 v9, s0, v8
	v_mul_hi_u32 v10, s0, v4
	v_mul_lo_u32 v11, s26, v4
	v_add_nc_u32_e32 v9, v10, v9
	v_mul_lo_u32 v10, s0, v4
	v_add_nc_u32_e32 v9, v9, v11
	v_mul_hi_u32 v11, v4, v10
	v_mul_lo_u32 v12, v4, v9
	v_mul_hi_u32 v13, v4, v9
	v_mul_hi_u32 v14, v8, v10
	v_mul_lo_u32 v10, v8, v10
	v_mul_hi_u32 v15, v8, v9
	v_mul_lo_u32 v9, v8, v9
	v_add_co_u32 v11, vcc_lo, v11, v12
	v_add_co_ci_u32_e32 v12, vcc_lo, 0, v13, vcc_lo
	v_add_co_u32 v10, vcc_lo, v11, v10
	v_add_co_ci_u32_e32 v10, vcc_lo, v12, v14, vcc_lo
	v_add_co_ci_u32_e32 v11, vcc_lo, 0, v15, vcc_lo
	v_add_co_u32 v9, vcc_lo, v10, v9
	v_add_co_ci_u32_e32 v10, vcc_lo, 0, v11, vcc_lo
	v_add_co_u32 v4, vcc_lo, v4, v9
	v_add_co_ci_u32_e32 v8, vcc_lo, v8, v10, vcc_lo
	v_mul_hi_u32 v9, s0, v4
	v_mul_lo_u32 v11, s26, v4
	v_mul_lo_u32 v10, s0, v8
	v_add_nc_u32_e32 v9, v9, v10
	v_mul_lo_u32 v10, s0, v4
	v_add_nc_u32_e32 v9, v9, v11
	v_mul_hi_u32 v11, v4, v10
	v_mul_lo_u32 v12, v4, v9
	v_mul_hi_u32 v13, v4, v9
	v_mul_hi_u32 v14, v8, v10
	v_mul_lo_u32 v10, v8, v10
	v_mul_hi_u32 v15, v8, v9
	v_mul_lo_u32 v9, v8, v9
	v_add_co_u32 v11, vcc_lo, v11, v12
	v_add_co_ci_u32_e32 v12, vcc_lo, 0, v13, vcc_lo
	v_add_co_u32 v10, vcc_lo, v11, v10
	v_add_co_ci_u32_e32 v10, vcc_lo, v12, v14, vcc_lo
	v_add_co_ci_u32_e32 v11, vcc_lo, 0, v15, vcc_lo
	v_add_co_u32 v9, vcc_lo, v10, v9
	v_add_co_ci_u32_e32 v10, vcc_lo, 0, v11, vcc_lo
	v_add_co_u32 v4, vcc_lo, v4, v9
	v_add_co_ci_u32_e32 v12, vcc_lo, v8, v10, vcc_lo
	v_mul_hi_u32 v14, v5, v4
	v_mad_u64_u32 v[10:11], null, v6, v4, 0
	v_mad_u64_u32 v[8:9], null, v5, v12, 0
	v_mad_u64_u32 v[12:13], null, v6, v12, 0
	v_add_co_u32 v4, vcc_lo, v14, v8
	v_add_co_ci_u32_e32 v8, vcc_lo, 0, v9, vcc_lo
	v_add_co_u32 v4, vcc_lo, v4, v10
	v_add_co_ci_u32_e32 v4, vcc_lo, v8, v11, vcc_lo
	v_add_co_ci_u32_e32 v8, vcc_lo, 0, v13, vcc_lo
	v_add_co_u32 v4, vcc_lo, v4, v12
	v_add_co_ci_u32_e32 v10, vcc_lo, 0, v8, vcc_lo
	v_mul_lo_u32 v11, s25, v4
	v_mad_u64_u32 v[8:9], null, s24, v4, 0
	v_mul_lo_u32 v12, s24, v10
	v_sub_co_u32 v8, vcc_lo, v5, v8
	v_add3_u32 v9, v9, v12, v11
	v_sub_nc_u32_e32 v11, v6, v9
	v_subrev_co_ci_u32_e64 v11, s0, s25, v11, vcc_lo
	v_add_co_u32 v12, s0, v4, 2
	v_add_co_ci_u32_e64 v13, s0, 0, v10, s0
	v_sub_co_u32 v14, s0, v8, s24
	v_sub_co_ci_u32_e32 v9, vcc_lo, v6, v9, vcc_lo
	v_subrev_co_ci_u32_e64 v11, s0, 0, v11, s0
	v_cmp_le_u32_e32 vcc_lo, s24, v14
	v_cmp_eq_u32_e64 s0, s25, v9
	v_cndmask_b32_e64 v14, 0, -1, vcc_lo
	v_cmp_le_u32_e32 vcc_lo, s25, v11
	v_cndmask_b32_e64 v15, 0, -1, vcc_lo
	v_cmp_le_u32_e32 vcc_lo, s24, v8
	;; [unrolled: 2-line block ×3, first 2 shown]
	v_cndmask_b32_e64 v16, 0, -1, vcc_lo
	v_cmp_eq_u32_e32 vcc_lo, s25, v11
	v_cndmask_b32_e64 v8, v16, v8, s0
	v_cndmask_b32_e32 v11, v15, v14, vcc_lo
	v_add_co_u32 v14, vcc_lo, v4, 1
	v_add_co_ci_u32_e32 v15, vcc_lo, 0, v10, vcc_lo
	v_cmp_ne_u32_e32 vcc_lo, 0, v11
	v_cndmask_b32_e32 v9, v15, v13, vcc_lo
	v_cndmask_b32_e32 v11, v14, v12, vcc_lo
	v_cmp_ne_u32_e32 vcc_lo, 0, v8
	v_cndmask_b32_e32 v51, v10, v9, vcc_lo
	v_cndmask_b32_e32 v50, v4, v11, vcc_lo
.LBB0_4:                                ;   in Loop: Header=BB0_2 Depth=1
	s_andn2_saveexec_b32 s0, s1
	s_cbranch_execz .LBB0_6
; %bb.5:                                ;   in Loop: Header=BB0_2 Depth=1
	v_cvt_f32_u32_e32 v4, s24
	s_sub_i32 s1, 0, s24
	v_mov_b32_e32 v51, v3
	v_rcp_iflag_f32_e32 v4, v4
	v_mul_f32_e32 v4, 0x4f7ffffe, v4
	v_cvt_u32_f32_e32 v4, v4
	v_mul_lo_u32 v8, s1, v4
	v_mul_hi_u32 v8, v4, v8
	v_add_nc_u32_e32 v4, v4, v8
	v_mul_hi_u32 v4, v5, v4
	v_mul_lo_u32 v8, v4, s24
	v_add_nc_u32_e32 v9, 1, v4
	v_sub_nc_u32_e32 v8, v5, v8
	v_subrev_nc_u32_e32 v10, s24, v8
	v_cmp_le_u32_e32 vcc_lo, s24, v8
	v_cndmask_b32_e32 v8, v8, v10, vcc_lo
	v_cndmask_b32_e32 v4, v4, v9, vcc_lo
	v_cmp_le_u32_e32 vcc_lo, s24, v8
	v_add_nc_u32_e32 v9, 1, v4
	v_cndmask_b32_e32 v50, v4, v9, vcc_lo
.LBB0_6:                                ;   in Loop: Header=BB0_2 Depth=1
	s_or_b32 exec_lo, exec_lo, s0
	v_mul_lo_u32 v4, v51, s24
	v_mul_lo_u32 v10, v50, s25
	s_load_dwordx2 s[0:1], s[6:7], 0x0
	v_mad_u64_u32 v[8:9], null, v50, s24, 0
	s_load_dwordx2 s[24:25], s[2:3], 0x0
	s_add_u32 s22, s22, 1
	s_addc_u32 s23, s23, 0
	s_add_u32 s2, s2, 8
	s_addc_u32 s3, s3, 0
	s_add_u32 s6, s6, 8
	v_add3_u32 v4, v9, v10, v4
	v_sub_co_u32 v5, vcc_lo, v5, v8
	s_addc_u32 s7, s7, 0
	s_add_u32 s20, s20, 8
	v_sub_co_ci_u32_e32 v4, vcc_lo, v6, v4, vcc_lo
	s_addc_u32 s21, s21, 0
	s_waitcnt lgkmcnt(0)
	v_mul_lo_u32 v6, s0, v4
	v_mul_lo_u32 v8, s1, v5
	v_mad_u64_u32 v[1:2], null, s0, v5, v[1:2]
	v_mul_lo_u32 v4, s24, v4
	v_mul_lo_u32 v9, s25, v5
	v_mad_u64_u32 v[48:49], null, s24, v5, v[48:49]
	v_cmp_ge_u64_e64 s0, s[22:23], s[14:15]
	v_add3_u32 v2, v8, v2, v6
	v_add3_u32 v49, v9, v49, v4
	s_and_b32 vcc_lo, exec_lo, s0
	s_cbranch_vccnz .LBB0_9
; %bb.7:                                ;   in Loop: Header=BB0_2 Depth=1
	v_mov_b32_e32 v5, v50
	v_mov_b32_e32 v6, v51
	s_branch .LBB0_2
.LBB0_8:
	v_mov_b32_e32 v49, v2
	v_mov_b32_e32 v51, v6
	;; [unrolled: 1-line block ×4, first 2 shown]
.LBB0_9:
	s_load_dwordx2 s[0:1], s[4:5], 0x28
	v_and_b32_e32 v4, 1, v7
	v_mul_hi_u32 v3, 0x25ed098, v0
	s_lshl_b64 s[4:5], s[14:15], 3
                                        ; implicit-def: $vgpr52
	s_add_u32 s2, s18, s4
	s_addc_u32 s3, s19, s5
	s_waitcnt lgkmcnt(0)
	v_cmp_gt_u64_e32 vcc_lo, s[0:1], v[50:51]
	v_cmp_le_u64_e64 s1, s[0:1], v[50:51]
	v_cmp_eq_u32_e64 s0, 1, v4
	s_and_saveexec_b32 s6, s1
	s_xor_b32 s1, exec_lo, s6
; %bb.10:
	v_mul_u32_u24_e32 v1, 0x6c, v3
                                        ; implicit-def: $vgpr3
	v_sub_nc_u32_e32 v52, v0, v1
                                        ; implicit-def: $vgpr0
                                        ; implicit-def: $vgpr1_vgpr2
; %bb.11:
	s_or_saveexec_b32 s1, s1
	s_load_dwordx2 s[2:3], s[2:3], 0x0
	v_cndmask_b32_e64 v56, 0, 0x439, s0
	v_lshlrev_b32_e32 v54, 4, v56
	s_xor_b32 exec_lo, exec_lo, s1
	s_cbranch_execz .LBB0_15
; %bb.12:
	s_add_u32 s4, s16, s4
	s_addc_u32 s5, s17, s5
	v_lshlrev_b64 v[1:2], 4, v[1:2]
	s_load_dwordx2 s[4:5], s[4:5], 0x0
	s_waitcnt lgkmcnt(0)
	v_mul_lo_u32 v6, s5, v50
	v_mul_lo_u32 v7, s4, v51
	v_mad_u64_u32 v[4:5], null, s4, v50, 0
	s_mov_b32 s4, exec_lo
	v_add3_u32 v5, v5, v7, v6
	v_mul_u32_u24_e32 v6, 0x6c, v3
	v_lshlrev_b64 v[3:4], 4, v[4:5]
	v_sub_nc_u32_e32 v52, v0, v6
	v_lshlrev_b32_e32 v43, 4, v52
	v_add_co_u32 v0, s0, s8, v3
	v_add_co_ci_u32_e64 v3, s0, s9, v4, s0
	v_add_co_u32 v0, s0, v0, v1
	v_add_co_ci_u32_e64 v1, s0, v3, v2, s0
	v_add3_u32 v2, 0, v54, v43
	v_add_co_u32 v11, s0, v0, v43
	v_add_co_ci_u32_e64 v12, s0, 0, v1, s0
	s_clause 0x1
	global_load_dwordx4 v[3:6], v[11:12], off
	global_load_dwordx4 v[7:10], v[11:12], off offset:1728
	v_add_co_u32 v13, s0, 0x800, v11
	v_add_co_ci_u32_e64 v14, s0, 0, v12, s0
	v_add_co_u32 v15, s0, 0x1000, v11
	v_add_co_ci_u32_e64 v16, s0, 0, v12, s0
	v_add_co_u32 v19, s0, 0x1800, v11
	v_add_co_ci_u32_e64 v20, s0, 0, v12, s0
	v_add_co_u32 v23, s0, 0x2000, v11
	v_add_co_ci_u32_e64 v24, s0, 0, v12, s0
	v_add_co_u32 v31, s0, 0x2800, v11
	v_add_co_ci_u32_e64 v32, s0, 0, v12, s0
	v_add_co_u32 v35, s0, 0x3000, v11
	v_add_co_ci_u32_e64 v36, s0, 0, v12, s0
	v_add_co_u32 v39, s0, 0x3800, v11
	v_add_co_ci_u32_e64 v40, s0, 0, v12, s0
	s_clause 0x7
	global_load_dwordx4 v[11:14], v[13:14], off offset:1408
	global_load_dwordx4 v[15:18], v[15:16], off offset:1088
	;; [unrolled: 1-line block ×8, first 2 shown]
	s_waitcnt vmcnt(9)
	ds_write_b128 v2, v[3:6]
	s_waitcnt vmcnt(8)
	ds_write_b128 v2, v[7:10] offset:1728
	s_waitcnt vmcnt(7)
	ds_write_b128 v2, v[11:14] offset:3456
	;; [unrolled: 2-line block ×9, first 2 shown]
	v_cmpx_eq_u32_e32 0x6b, v52
	s_cbranch_execz .LBB0_14
; %bb.13:
	v_add_co_u32 v0, s0, 0x4000, v0
	v_add_co_ci_u32_e64 v1, s0, 0, v1, s0
	v_mov_b32_e32 v52, 0x6b
	global_load_dwordx4 v[3:6], v[0:1], off offset:896
	s_waitcnt vmcnt(0)
	ds_write_b128 v2, v[3:6] offset:15568
.LBB0_14:
	s_or_b32 exec_lo, exec_lo, s4
.LBB0_15:
	s_or_b32 exec_lo, exec_lo, s1
	v_lshl_add_u32 v55, v56, 4, 0
	v_lshlrev_b32_e32 v0, 4, v52
	s_waitcnt lgkmcnt(0)
	s_barrier
	buffer_gl0_inv
	s_add_u32 s1, s12, 0x4320
	v_add_nc_u32_e32 v58, v55, v0
	v_sub_nc_u32_e32 v6, v55, v0
	s_addc_u32 s4, s13, 0
	s_mov_b32 s5, exec_lo
	ds_read_b64 v[2:3], v58
	ds_read_b64 v[4:5], v6 offset:17280
	s_waitcnt lgkmcnt(0)
	v_add_f64 v[0:1], v[2:3], v[4:5]
	v_add_f64 v[2:3], v[2:3], -v[4:5]
                                        ; implicit-def: $vgpr4_vgpr5
	v_cmpx_ne_u32_e32 0, v52
	s_xor_b32 s5, exec_lo, s5
	s_cbranch_execz .LBB0_17
; %bb.16:
	v_mov_b32_e32 v53, 0
	v_lshlrev_b64 v[4:5], 4, v[52:53]
	v_add_co_u32 v4, s0, s1, v4
	v_add_co_ci_u32_e64 v5, s0, s4, v5, s0
	global_load_dwordx4 v[7:10], v[4:5], off
	ds_read_b64 v[4:5], v6 offset:17288
	ds_read_b64 v[11:12], v58 offset:8
	s_waitcnt lgkmcnt(0)
	v_add_f64 v[13:14], v[4:5], v[11:12]
	v_add_f64 v[4:5], v[11:12], -v[4:5]
	s_waitcnt vmcnt(0)
	v_fma_f64 v[11:12], v[2:3], v[9:10], v[0:1]
	v_fma_f64 v[15:16], v[13:14], v[9:10], v[4:5]
	v_fma_f64 v[0:1], -v[2:3], v[9:10], v[0:1]
	v_fma_f64 v[4:5], v[13:14], v[9:10], -v[4:5]
	v_fma_f64 v[9:10], -v[13:14], v[7:8], v[11:12]
	v_fma_f64 v[11:12], v[2:3], v[7:8], v[15:16]
	v_fma_f64 v[0:1], v[13:14], v[7:8], v[0:1]
	v_fma_f64 v[2:3], v[2:3], v[7:8], v[4:5]
	v_mov_b32_e32 v4, v52
	v_mov_b32_e32 v5, v53
	ds_write_b128 v58, v[9:12]
	ds_write_b128 v6, v[0:3] offset:17280
                                        ; implicit-def: $vgpr0_vgpr1
.LBB0_17:
	s_andn2_saveexec_b32 s0, s5
	s_cbranch_execz .LBB0_19
; %bb.18:
	ds_write_b128 v58, v[0:3]
	ds_read_b128 v[0:3], v55 offset:8640
	v_mov_b32_e32 v4, 0
	v_mov_b32_e32 v5, 0
	s_waitcnt lgkmcnt(0)
	v_add_f64 v[0:1], v[0:1], v[0:1]
	v_mul_f64 v[2:3], v[2:3], -2.0
	ds_write_b128 v55, v[0:3] offset:8640
.LBB0_19:
	s_or_b32 exec_lo, exec_lo, s0
	v_lshlrev_b64 v[0:1], 4, v[4:5]
	v_lshl_add_u32 v53, v52, 4, 0
	s_mov_b32 s5, 0x3febb67a
	v_add_nc_u32_e32 v57, v53, v54
	v_add_co_u32 v4, s0, s1, v0
	v_add_co_ci_u32_e64 v5, s0, s4, v1, s0
	v_mad_u32_u24 v53, 0x50, v52, v53
	v_add_co_u32 v7, s0, 0x800, v4
	global_load_dwordx4 v[0:3], v[4:5], off offset:1728
	v_add_co_ci_u32_e64 v8, s0, 0, v5, s0
	v_add_co_u32 v11, s0, 0x1000, v4
	v_add_co_ci_u32_e64 v12, s0, 0, v5, s0
	global_load_dwordx4 v[7:10], v[7:8], off offset:1408
	v_add_co_u32 v4, s0, 0x1800, v4
	global_load_dwordx4 v[11:14], v[11:12], off offset:1088
	v_add_co_ci_u32_e64 v5, s0, 0, v5, s0
	ds_read_b128 v[15:18], v58 offset:1728
	ds_read_b128 v[19:22], v6 offset:15552
	s_mov_b32 s0, 0xe8584caa
	s_mov_b32 s1, 0xbfebb67a
	global_load_dwordx4 v[23:26], v[4:5], off offset:768
	s_mov_b32 s4, s0
	s_waitcnt lgkmcnt(0)
	v_add_f64 v[4:5], v[15:16], v[19:20]
	v_add_f64 v[27:28], v[21:22], v[17:18]
	v_add_f64 v[19:20], v[15:16], -v[19:20]
	v_add_f64 v[15:16], v[17:18], -v[21:22]
	s_waitcnt vmcnt(3)
	v_fma_f64 v[17:18], v[19:20], v[2:3], v[4:5]
	v_fma_f64 v[21:22], v[27:28], v[2:3], v[15:16]
	v_fma_f64 v[29:30], -v[19:20], v[2:3], v[4:5]
	v_fma_f64 v[31:32], v[27:28], v[2:3], -v[15:16]
	v_fma_f64 v[2:3], -v[27:28], v[0:1], v[17:18]
	v_fma_f64 v[4:5], v[19:20], v[0:1], v[21:22]
	v_fma_f64 v[15:16], v[27:28], v[0:1], v[29:30]
	v_fma_f64 v[17:18], v[19:20], v[0:1], v[31:32]
	ds_write_b128 v58, v[2:5] offset:1728
	ds_write_b128 v6, v[15:18] offset:15552
	ds_read_b128 v[0:3], v58 offset:3456
	ds_read_b128 v[15:18], v6 offset:13824
	s_waitcnt lgkmcnt(0)
	v_add_f64 v[4:5], v[0:1], v[15:16]
	v_add_f64 v[19:20], v[17:18], v[2:3]
	v_add_f64 v[21:22], v[0:1], -v[15:16]
	v_add_f64 v[0:1], v[2:3], -v[17:18]
	s_waitcnt vmcnt(2)
	v_fma_f64 v[2:3], v[21:22], v[9:10], v[4:5]
	v_fma_f64 v[15:16], v[19:20], v[9:10], v[0:1]
	v_fma_f64 v[4:5], -v[21:22], v[9:10], v[4:5]
	v_fma_f64 v[9:10], v[19:20], v[9:10], -v[0:1]
	v_fma_f64 v[0:1], -v[19:20], v[7:8], v[2:3]
	v_fma_f64 v[2:3], v[21:22], v[7:8], v[15:16]
	v_fma_f64 v[15:16], v[19:20], v[7:8], v[4:5]
	v_fma_f64 v[17:18], v[21:22], v[7:8], v[9:10]
	ds_write_b128 v58, v[0:3] offset:3456
	ds_write_b128 v6, v[15:18] offset:13824
	ds_read_b128 v[0:3], v58 offset:5184
	ds_read_b128 v[7:10], v6 offset:12096
	;; [unrolled: 18-line block ×3, first 2 shown]
	s_waitcnt lgkmcnt(0)
	v_add_f64 v[4:5], v[0:1], v[7:8]
	v_add_f64 v[11:12], v[9:10], v[2:3]
	v_add_f64 v[13:14], v[0:1], -v[7:8]
	v_add_f64 v[0:1], v[2:3], -v[9:10]
	s_waitcnt vmcnt(0)
	v_fma_f64 v[2:3], v[13:14], v[25:26], v[4:5]
	v_fma_f64 v[7:8], v[11:12], v[25:26], v[0:1]
	v_fma_f64 v[4:5], -v[13:14], v[25:26], v[4:5]
	v_fma_f64 v[9:10], v[11:12], v[25:26], -v[0:1]
	v_fma_f64 v[0:1], -v[11:12], v[23:24], v[2:3]
	v_fma_f64 v[2:3], v[13:14], v[23:24], v[7:8]
	v_fma_f64 v[7:8], v[11:12], v[23:24], v[4:5]
	;; [unrolled: 1-line block ×3, first 2 shown]
	ds_write_b128 v58, v[0:3] offset:6912
	ds_write_b128 v6, v[7:10] offset:10368
	s_waitcnt lgkmcnt(0)
	s_barrier
	buffer_gl0_inv
	s_barrier
	buffer_gl0_inv
	ds_read_b128 v[0:3], v57 offset:14400
	ds_read_b128 v[4:7], v57 offset:8640
	;; [unrolled: 1-line block ×10, first 2 shown]
	ds_read_b128 v[44:47], v58
	s_waitcnt lgkmcnt(9)
	v_add_f64 v[28:29], v[6:7], v[2:3]
	v_add_f64 v[59:60], v[4:5], v[0:1]
	s_waitcnt lgkmcnt(7)
	v_add_f64 v[30:31], v[10:11], v[14:15]
	v_add_f64 v[61:62], v[4:5], -v[0:1]
	v_add_f64 v[65:66], v[8:9], v[12:13]
	v_add_f64 v[67:68], v[8:9], -v[12:13]
	s_waitcnt lgkmcnt(2)
	v_add_f64 v[71:72], v[36:37], v[40:41]
	v_add_f64 v[73:74], v[38:39], v[42:43]
	v_add_f64 v[75:76], v[6:7], -v[2:3]
	s_waitcnt lgkmcnt(1)
	v_add_f64 v[77:78], v[24:25], v[20:21]
	v_add_f64 v[81:82], v[26:27], v[22:23]
	v_add_f64 v[85:86], v[38:39], -v[42:43]
	v_add_f64 v[4:5], v[32:33], v[4:5]
	v_add_f64 v[6:7], v[34:35], v[6:7]
	v_add_f64 v[87:88], v[24:25], -v[20:21]
	v_fma_f64 v[63:64], v[28:29], -0.5, v[34:35]
	v_fma_f64 v[59:60], v[59:60], -0.5, v[32:33]
	;; [unrolled: 1-line block ×3, first 2 shown]
	ds_read_b128 v[28:31], v57 offset:1728
	v_fma_f64 v[65:66], v[65:66], -0.5, v[16:17]
	s_waitcnt lgkmcnt(1)
	v_add_f64 v[38:39], v[46:47], v[38:39]
	v_add_f64 v[34:35], v[26:27], -v[22:23]
	v_fma_f64 v[32:33], v[71:72], -0.5, v[44:45]
	s_waitcnt lgkmcnt(0)
	s_barrier
	buffer_gl0_inv
	v_add_f64 v[0:1], v[4:5], v[0:1]
	v_add_f64 v[2:3], v[6:7], v[2:3]
	v_fma_f64 v[79:80], v[61:62], s[4:5], v[63:64]
	v_fma_f64 v[61:62], v[61:62], s[0:1], v[63:64]
	v_add_f64 v[63:64], v[10:11], -v[14:15]
	v_fma_f64 v[83:84], v[67:68], s[4:5], v[69:70]
	v_fma_f64 v[67:68], v[67:68], s[0:1], v[69:70]
	v_add_f64 v[69:70], v[44:45], v[36:37]
	v_add_f64 v[36:37], v[36:37], -v[40:41]
	v_fma_f64 v[44:45], v[73:74], -0.5, v[46:47]
	v_fma_f64 v[46:47], v[77:78], -0.5, v[28:29]
	v_fma_f64 v[71:72], v[75:76], s[0:1], v[59:60]
	v_fma_f64 v[59:60], v[75:76], s[4:5], v[59:60]
	v_add_f64 v[91:92], v[38:39], v[42:43]
	v_fma_f64 v[4:5], v[85:86], s[0:1], v[32:33]
	v_fma_f64 v[85:86], v[85:86], s[4:5], v[32:33]
	v_mul_f64 v[73:74], v[79:80], s[0:1]
	v_mul_f64 v[77:78], v[79:80], 0.5
	v_fma_f64 v[79:80], v[81:82], -0.5, v[30:31]
	v_fma_f64 v[81:82], v[63:64], s[0:1], v[65:66]
	v_fma_f64 v[63:64], v[63:64], s[4:5], v[65:66]
	v_mul_f64 v[65:66], v[83:84], s[0:1]
	v_mul_f64 v[89:90], v[67:68], s[0:1]
	v_mul_f64 v[83:84], v[83:84], 0.5
	v_mul_f64 v[67:68], v[67:68], -0.5
	v_mul_f64 v[75:76], v[61:62], s[0:1]
	v_mul_f64 v[61:62], v[61:62], -0.5
	v_add_f64 v[69:70], v[69:70], v[40:41]
	v_fma_f64 v[6:7], v[36:37], s[4:5], v[44:45]
	v_fma_f64 v[93:94], v[36:37], s[0:1], v[44:45]
	;; [unrolled: 1-line block ×4, first 2 shown]
	v_fma_f64 v[73:74], v[71:72], 0.5, v[73:74]
	v_fma_f64 v[77:78], v[71:72], s[4:5], v[77:78]
	v_fma_f64 v[40:41], v[87:88], s[4:5], v[79:80]
	;; [unrolled: 1-line block ×3, first 2 shown]
	v_cmp_gt_u32_e64 s0, 0x48, v52
	v_fma_f64 v[36:37], v[81:82], 0.5, v[65:66]
	v_fma_f64 v[38:39], v[63:64], -0.5, v[89:90]
	v_fma_f64 v[44:45], v[81:82], s[4:5], v[83:84]
	v_fma_f64 v[46:47], v[63:64], s[4:5], v[67:68]
	v_fma_f64 v[95:96], v[59:60], -0.5, v[75:76]
	v_fma_f64 v[97:98], v[59:60], s[4:5], v[61:62]
	v_add_f64 v[59:60], v[69:70], v[0:1]
	v_add_f64 v[61:62], v[91:92], v[2:3]
	v_add_f64 v[63:64], v[69:70], -v[0:1]
	v_add_f64 v[65:66], v[91:92], -v[2:3]
	v_add_nc_u32_e32 v83, v53, v54
	v_add_f64 v[67:68], v[4:5], v[73:74]
	v_add_f64 v[69:70], v[6:7], v[77:78]
	v_add_f64 v[71:72], v[4:5], -v[73:74]
	v_add_f64 v[73:74], v[6:7], -v[77:78]
	v_add_f64 v[0:1], v[32:33], -v[36:37]
	v_add_f64 v[4:5], v[34:35], -v[38:39]
	v_add_f64 v[2:3], v[40:41], -v[44:45]
	v_add_f64 v[6:7], v[42:43], -v[46:47]
	v_add_f64 v[75:76], v[85:86], v[95:96]
	v_add_f64 v[77:78], v[93:94], v[97:98]
	v_add_f64 v[79:80], v[85:86], -v[95:96]
	v_add_f64 v[81:82], v[93:94], -v[97:98]
	ds_write_b128 v83, v[59:62]
	ds_write_b128 v83, v[63:66] offset:48
	ds_write_b128 v83, v[67:70] offset:16
	ds_write_b128 v83, v[75:78] offset:32
	ds_write_b128 v83, v[71:74] offset:64
	ds_write_b128 v83, v[79:82] offset:80
	s_and_saveexec_b32 s1, s0
	s_cbranch_execz .LBB0_21
; %bb.20:
	v_add_f64 v[26:27], v[30:31], v[26:27]
	v_add_f64 v[10:11], v[18:19], v[10:11]
	;; [unrolled: 1-line block ×12, first 2 shown]
	v_add_f64 v[18:19], v[16:17], -v[22:23]
	v_add_f64 v[22:23], v[16:17], v[22:23]
	v_add_f64 v[20:21], v[24:25], v[26:27]
	v_add_f64 v[16:17], v[24:25], -v[26:27]
	v_lshl_add_u32 v24, v56, 4, v53
	ds_write_b128 v24, v[0:3] offset:10432
	ds_write_b128 v24, v[12:15] offset:10384
	;; [unrolled: 1-line block ×6, first 2 shown]
.LBB0_21:
	s_or_b32 exec_lo, exec_lo, s1
	v_and_b32_e32 v8, 0xff, v52
	v_mov_b32_e32 v10, 9
	s_waitcnt lgkmcnt(0)
	s_barrier
	buffer_gl0_inv
	v_mul_lo_u16 v8, 0xab, v8
	v_mad_i32_i24 v60, 0xffffffb0, v52, v53
	s_mov_b32 s6, 0x134454ff
	s_mov_b32 s7, 0xbfee6f0e
	;; [unrolled: 1-line block ×3, first 2 shown]
	v_lshrrev_b16 v8, 10, v8
	v_add_nc_u32_e32 v59, v60, v54
	s_mov_b32 s4, s6
	s_mov_b32 s16, 0x4755a5e
	;; [unrolled: 1-line block ×3, first 2 shown]
	v_mul_lo_u16 v9, v8, 6
	s_mov_b32 s9, 0x3fe2cf23
	s_mov_b32 s8, s16
	s_mov_b32 s14, 0x372fe950
	s_mov_b32 s15, 0x3fd3c6ef
	v_sub_nc_u16 v20, v52, v9
	s_mov_b32 s18, 0x9b97f4a8
	s_mov_b32 s19, 0x3fe9e377
	;; [unrolled: 1-line block ×4, first 2 shown]
	v_mul_u32_u24_sdwa v9, v20, v10 dst_sel:DWORD dst_unused:UNUSED_PAD src0_sel:BYTE_0 src1_sel:DWORD
	s_mov_b32 s23, 0xbfe9e377
	s_mov_b32 s22, s18
	v_mov_b32_e32 v53, 4
	v_lshlrev_b32_e32 v17, 4, v9
	s_clause 0x8
	global_load_dwordx4 v[9:12], v17, s[12:13] offset:16
	global_load_dwordx4 v[13:16], v17, s[12:13] offset:48
	;; [unrolled: 1-line block ×6, first 2 shown]
	global_load_dwordx4 v[37:40], v17, s[12:13]
	global_load_dwordx4 v[41:44], v17, s[12:13] offset:64
	global_load_dwordx4 v[61:64], v17, s[12:13] offset:96
	ds_read_b128 v[65:68], v59 offset:3456
	ds_read_b128 v[69:72], v59 offset:6912
	;; [unrolled: 1-line block ×6, first 2 shown]
	v_lshlrev_b32_sdwa v20, v53, v20 dst_sel:DWORD dst_unused:UNUSED_PAD src0_sel:DWORD src1_sel:BYTE_0
	s_waitcnt vmcnt(8) lgkmcnt(5)
	v_mul_f64 v[45:46], v[67:68], v[11:12]
	v_mul_f64 v[11:12], v[65:66], v[11:12]
	s_waitcnt vmcnt(7) lgkmcnt(4)
	v_mul_f64 v[93:94], v[71:72], v[15:16]
	v_mul_f64 v[95:96], v[69:70], v[15:16]
	;; [unrolled: 3-line block ×3, first 2 shown]
	ds_read_b128 v[15:18], v59 offset:15552
	ds_read_b128 v[89:92], v59 offset:1728
	s_waitcnt vmcnt(5) lgkmcnt(2)
	v_mul_f64 v[101:102], v[87:88], v[27:28]
	v_mul_f64 v[27:28], v[85:86], v[27:28]
	s_waitcnt vmcnt(4)
	v_mul_f64 v[103:104], v[77:78], v[31:32]
	v_mul_f64 v[31:32], v[79:80], v[31:32]
	v_fma_f64 v[45:46], v[65:66], v[9:10], v[45:46]
	v_fma_f64 v[99:100], v[67:68], v[9:10], -v[11:12]
	ds_read_b128 v[9:12], v57 offset:8640
	ds_read_b128 v[65:68], v58
	v_fma_f64 v[69:70], v[69:70], v[13:14], v[93:94]
	v_fma_f64 v[13:14], v[71:72], v[13:14], -v[95:96]
	s_waitcnt vmcnt(3) lgkmcnt(3)
	v_mul_f64 v[71:72], v[15:16], v[35:36]
	v_fma_f64 v[73:74], v[73:74], v[21:22], v[97:98]
	v_fma_f64 v[21:22], v[75:76], v[21:22], -v[23:24]
	s_waitcnt vmcnt(0)
	v_mul_f64 v[75:76], v[81:82], v[63:64]
	s_waitcnt lgkmcnt(2)
	v_mul_f64 v[93:94], v[89:90], v[39:40]
	v_fma_f64 v[85:86], v[85:86], v[25:26], v[101:102]
	v_fma_f64 v[25:26], v[87:88], v[25:26], -v[27:28]
	v_mul_f64 v[27:28], v[83:84], v[63:64]
	v_mul_f64 v[35:36], v[17:18], v[35:36]
	v_fma_f64 v[63:64], v[79:80], v[29:30], -v[103:104]
	v_mul_f64 v[39:40], v[91:92], v[39:40]
	v_fma_f64 v[29:30], v[77:78], v[29:30], v[31:32]
	s_waitcnt lgkmcnt(0)
	s_barrier
	buffer_gl0_inv
	v_mul_f64 v[23:24], v[9:10], v[43:44]
	v_mul_f64 v[43:44], v[11:12], v[43:44]
	v_add_f64 v[77:78], v[65:66], v[45:46]
	v_add_f64 v[79:80], v[69:70], -v[45:46]
	v_fma_f64 v[17:18], v[17:18], v[33:34], -v[71:72]
	v_fma_f64 v[31:32], v[91:92], v[37:38], -v[93:94]
	v_add_f64 v[71:72], v[85:86], -v[73:74]
	v_fma_f64 v[27:28], v[81:82], v[61:62], v[27:28]
	v_fma_f64 v[15:16], v[15:16], v[33:34], v[35:36]
	v_add_f64 v[35:36], v[69:70], v[73:74]
	v_fma_f64 v[37:38], v[89:90], v[37:38], v[39:40]
	v_add_f64 v[39:40], v[45:46], -v[69:70]
	v_add_f64 v[81:82], v[73:74], -v[85:86]
	v_fma_f64 v[11:12], v[11:12], v[41:42], -v[23:24]
	v_fma_f64 v[23:24], v[83:84], v[61:62], -v[75:76]
	v_fma_f64 v[9:10], v[9:10], v[41:42], v[43:44]
	v_add_f64 v[43:44], v[13:14], v[21:22]
	v_add_f64 v[61:62], v[99:100], v[25:26]
	;; [unrolled: 1-line block ×5, first 2 shown]
	v_add_f64 v[45:46], v[45:46], -v[85:86]
	v_add_f64 v[77:78], v[77:78], v[69:70]
	v_add_f64 v[69:70], v[69:70], -v[73:74]
	v_add_f64 v[89:90], v[29:30], v[15:16]
	v_add_f64 v[95:96], v[15:16], -v[27:28]
	v_add_f64 v[101:102], v[27:28], -v[15:16]
	v_add_f64 v[39:40], v[39:40], v[71:72]
	v_fma_f64 v[35:36], v[35:36], -0.5, v[65:66]
	v_add_f64 v[79:80], v[79:80], v[81:82]
	v_add_f64 v[103:104], v[63:64], -v[11:12]
	v_add_f64 v[75:76], v[11:12], v[23:24]
	v_add_f64 v[87:88], v[9:10], v[27:28]
	v_add_f64 v[91:92], v[9:10], -v[27:28]
	v_add_f64 v[105:106], v[17:18], -v[23:24]
	v_fma_f64 v[43:44], v[43:44], -0.5, v[67:68]
	v_fma_f64 v[33:34], v[33:34], -0.5, v[31:32]
	;; [unrolled: 1-line block ×3, first 2 shown]
	v_add_f64 v[67:68], v[29:30], -v[15:16]
	v_add_f64 v[93:94], v[29:30], -v[9:10]
	v_add_f64 v[97:98], v[9:10], -v[29:30]
	v_fma_f64 v[41:42], v[41:42], -0.5, v[65:66]
	v_add_f64 v[65:66], v[11:12], -v[63:64]
	v_add_f64 v[29:30], v[37:38], v[29:30]
	v_add_f64 v[73:74], v[77:78], v[73:74]
	v_fma_f64 v[71:72], v[75:76], -0.5, v[31:32]
	v_add_f64 v[75:76], v[23:24], -v[17:18]
	v_add_f64 v[31:32], v[31:32], v[63:64]
	v_add_f64 v[63:64], v[63:64], -v[17:18]
	v_fma_f64 v[81:82], v[87:88], -0.5, v[37:38]
	v_fma_f64 v[37:38], v[89:90], -0.5, v[37:38]
	v_fma_f64 v[87:88], v[91:92], s[6:7], v[33:34]
	v_fma_f64 v[33:34], v[91:92], s[4:5], v[33:34]
	v_add_f64 v[89:90], v[11:12], -v[23:24]
	v_add_f64 v[103:104], v[103:104], v[105:106]
	v_add_f64 v[93:94], v[93:94], v[95:96]
	v_add_f64 v[95:96], v[99:100], -v[13:14]
	v_add_f64 v[97:98], v[97:98], v[101:102]
	v_add_f64 v[101:102], v[13:14], -v[99:100]
	v_add_f64 v[99:100], v[99:100], -v[25:26]
	v_add_f64 v[9:10], v[29:30], v[9:10]
	v_add_f64 v[29:30], v[25:26], -v[21:22]
	v_add_f64 v[73:74], v[73:74], v[85:86]
	v_fma_f64 v[105:106], v[67:68], s[4:5], v[71:72]
	v_fma_f64 v[71:72], v[67:68], s[6:7], v[71:72]
	v_add_f64 v[65:66], v[65:66], v[75:76]
	v_add_f64 v[75:76], v[13:14], -v[21:22]
	v_add_f64 v[13:14], v[83:84], v[13:14]
	v_fma_f64 v[83:84], v[63:64], s[6:7], v[81:82]
	v_fma_f64 v[81:82], v[63:64], s[4:5], v[81:82]
	;; [unrolled: 1-line block ×6, first 2 shown]
	v_add_f64 v[11:12], v[31:32], v[11:12]
	v_add_f64 v[31:32], v[21:22], -v[25:26]
	v_add_f64 v[9:10], v[9:10], v[27:28]
	v_add_f64 v[29:30], v[95:96], v[29:30]
	v_fma_f64 v[105:106], v[91:92], s[8:9], v[105:106]
	v_fma_f64 v[71:72], v[91:92], s[16:17], v[71:72]
	;; [unrolled: 1-line block ×4, first 2 shown]
	v_add_f64 v[13:14], v[13:14], v[21:22]
	v_fma_f64 v[83:84], v[89:90], s[16:17], v[83:84]
	v_fma_f64 v[81:82], v[89:90], s[8:9], v[81:82]
	;; [unrolled: 1-line block ×12, first 2 shown]
	v_add_f64 v[11:12], v[11:12], v[23:24]
	v_add_f64 v[31:32], v[101:102], v[31:32]
	;; [unrolled: 1-line block ×3, first 2 shown]
	v_fma_f64 v[105:106], v[103:104], s[14:15], v[105:106]
	v_fma_f64 v[71:72], v[103:104], s[14:15], v[71:72]
	v_fma_f64 v[21:22], v[75:76], s[16:17], v[91:92]
	v_fma_f64 v[23:24], v[75:76], s[8:9], v[35:36]
	v_add_f64 v[13:14], v[13:14], v[25:26]
	v_fma_f64 v[27:28], v[99:100], s[16:17], v[89:90]
	v_fma_f64 v[35:36], v[99:100], s[8:9], v[41:42]
	v_fma_f64 v[67:68], v[97:98], s[14:15], v[67:68]
	v_fma_f64 v[37:38], v[97:98], s[14:15], v[37:38]
	v_fma_f64 v[41:42], v[69:70], s[8:9], v[63:64]
	v_fma_f64 v[43:44], v[69:70], s[16:17], v[43:44]
	v_mul_f64 v[75:76], v[87:88], s[6:7]
	v_mul_f64 v[87:88], v[87:88], s[14:15]
	v_fma_f64 v[63:64], v[45:46], s[8:9], v[65:66]
	v_fma_f64 v[45:46], v[45:46], s[16:17], v[61:62]
	;; [unrolled: 1-line block ×3, first 2 shown]
	v_mul_f64 v[77:78], v[33:34], s[6:7]
	v_mul_f64 v[33:34], v[33:34], s[20:21]
	v_fma_f64 v[65:66], v[93:94], s[14:15], v[81:82]
	v_add_f64 v[11:12], v[11:12], v[17:18]
	v_mul_f64 v[69:70], v[105:106], s[16:17]
	v_mul_f64 v[83:84], v[105:106], s[18:19]
	;; [unrolled: 1-line block ×4, first 2 shown]
	v_fma_f64 v[15:16], v[39:40], s[14:15], v[21:22]
	v_fma_f64 v[18:19], v[39:40], s[14:15], v[23:24]
	;; [unrolled: 1-line block ×10, first 2 shown]
	v_add_f64 v[28:29], v[73:74], v[9:10]
	v_fma_f64 v[77:78], v[37:38], s[20:21], v[77:78]
	v_fma_f64 v[87:88], v[37:38], s[4:5], v[33:34]
	v_add_f64 v[32:33], v[73:74], -v[9:10]
	v_add_f64 v[30:31], v[13:14], v[11:12]
	v_fma_f64 v[69:70], v[61:62], s[18:19], v[69:70]
	v_fma_f64 v[83:84], v[61:62], s[8:9], v[83:84]
	;; [unrolled: 1-line block ×4, first 2 shown]
	v_add_f64 v[34:35], v[13:14], -v[11:12]
	v_and_b32_e32 v71, 0xffff, v8
	v_add_f64 v[40:41], v[21:22], v[75:76]
	v_add_f64 v[12:13], v[21:22], -v[75:76]
	v_add_f64 v[42:43], v[85:86], v[67:68]
	v_mad_u32_u24 v21, 0x3c0, v71, 0
	v_add_f64 v[44:45], v[23:24], v[77:78]
	v_add_f64 v[46:47], v[89:90], v[87:88]
	v_add3_u32 v20, v21, v20, v54
	v_add_f64 v[36:37], v[15:16], v[69:70]
	v_add_f64 v[38:39], v[26:27], v[83:84]
	;; [unrolled: 1-line block ×4, first 2 shown]
	v_add_f64 v[8:9], v[15:16], -v[69:70]
	v_add_f64 v[10:11], v[26:27], -v[83:84]
	;; [unrolled: 1-line block ×7, first 2 shown]
	ds_write_b128 v20, v[28:31]
	ds_write_b128 v20, v[32:35] offset:480
	ds_write_b128 v20, v[36:39] offset:96
	;; [unrolled: 1-line block ×9, first 2 shown]
	s_waitcnt lgkmcnt(0)
	s_barrier
	buffer_gl0_inv
	ds_read_b128 v[20:23], v58
	ds_read_b128 v[28:31], v57 offset:2880
	ds_read_b128 v[32:35], v57 offset:5760
	;; [unrolled: 1-line block ×5, first 2 shown]
	s_and_saveexec_b32 s1, s0
	s_cbranch_execz .LBB0_23
; %bb.22:
	ds_read_b128 v[12:15], v57 offset:4608
	ds_read_b128 v[16:19], v57 offset:7488
	ds_read_b128 v[24:27], v57 offset:10368
	ds_read_b128 v[0:3], v57 offset:13248
	ds_read_b128 v[8:11], v59 offset:1728
	ds_read_b128 v[4:7], v57 offset:16128
.LBB0_23:
	s_or_b32 exec_lo, exec_lo, s1
	v_add_nc_u32_e32 v61, 0x6c, v52
	v_subrev_nc_u32_e32 v53, 60, v52
	v_cmp_gt_u32_e64 s1, 60, v52
	v_mov_b32_e32 v63, 0
	v_mov_b32_e32 v67, 5
	v_and_b32_e32 v62, 0xff, v61
	s_mov_b32 s4, 0xe8584caa
	v_cndmask_b32_e64 v111, v53, v52, s1
	s_mov_b32 s5, 0xbfebb67a
	s_mov_b32 s7, 0x3febb67a
	v_mul_lo_u16 v53, 0x89, v62
	s_mov_b32 s6, s4
	v_mul_i32_i24_e32 v62, 5, v111
	v_lshrrev_b16 v53, 13, v53
	v_lshlrev_b64 v[62:63], 4, v[62:63]
	v_mul_lo_u16 v64, v53, 60
	v_add_co_u32 v91, s1, s12, v62
	v_sub_nc_u16 v62, v61, v64
	v_add_co_ci_u32_e64 v92, s1, s13, v63, s1
	v_cmp_lt_u32_e64 s1, 59, v52
	v_mul_u32_u24_sdwa v71, v62, v67 dst_sel:DWORD dst_unused:UNUSED_PAD src0_sel:BYTE_0 src1_sel:DWORD
	s_clause 0x1
	global_load_dwordx4 v[63:66], v[91:92], off offset:896
	global_load_dwordx4 v[67:70], v[91:92], off offset:928
	v_lshlrev_b32_e32 v99, 4, v71
	s_clause 0x7
	global_load_dwordx4 v[71:74], v99, s[12:13] offset:896
	global_load_dwordx4 v[75:78], v99, s[12:13] offset:928
	global_load_dwordx4 v[79:82], v[91:92], off offset:864
	global_load_dwordx4 v[83:86], v99, s[12:13] offset:864
	global_load_dwordx4 v[87:90], v[91:92], off offset:880
	global_load_dwordx4 v[91:94], v[91:92], off offset:912
	global_load_dwordx4 v[95:98], v99, s[12:13] offset:880
	global_load_dwordx4 v[99:102], v99, s[12:13] offset:912
	s_waitcnt vmcnt(0) lgkmcnt(0)
	s_barrier
	buffer_gl0_inv
	v_mul_f64 v[103:104], v[46:47], v[65:66]
	v_mul_f64 v[65:66], v[44:45], v[65:66]
	;; [unrolled: 1-line block ×6, first 2 shown]
	v_fma_f64 v[44:45], v[44:45], v[63:64], v[103:104]
	v_fma_f64 v[46:47], v[46:47], v[63:64], -v[65:66]
	v_mul_f64 v[63:64], v[26:27], v[73:74]
	v_mul_f64 v[65:66], v[28:29], v[81:82]
	v_fma_f64 v[42:43], v[42:43], v[67:68], -v[105:106]
	v_mul_f64 v[73:74], v[6:7], v[77:78]
	v_mul_f64 v[77:78], v[12:13], v[85:86]
	v_fma_f64 v[26:27], v[26:27], v[71:72], -v[107:108]
	v_fma_f64 v[6:7], v[6:7], v[75:76], -v[109:110]
	v_fma_f64 v[40:41], v[40:41], v[67:68], v[69:70]
	v_mul_f64 v[67:68], v[34:35], v[89:90]
	v_mul_f64 v[69:70], v[32:33], v[89:90]
	;; [unrolled: 1-line block ×5, first 2 shown]
	v_fma_f64 v[24:25], v[24:25], v[71:72], v[63:64]
	v_mul_f64 v[63:64], v[30:31], v[81:82]
	v_mul_f64 v[71:72], v[18:19], v[97:98]
	v_fma_f64 v[30:31], v[30:31], v[79:80], -v[65:66]
	v_add_f64 v[65:66], v[46:47], v[42:43]
	v_mul_f64 v[81:82], v[16:17], v[97:98]
	v_fma_f64 v[4:5], v[4:5], v[75:76], v[73:74]
	v_mul_f64 v[73:74], v[2:3], v[101:102]
	v_mul_f64 v[75:76], v[0:1], v[101:102]
	v_fma_f64 v[14:15], v[14:15], v[83:84], -v[77:78]
	v_add_f64 v[77:78], v[26:27], v[6:7]
	v_fma_f64 v[32:33], v[32:33], v[87:88], v[67:68]
	v_fma_f64 v[34:35], v[34:35], v[87:88], -v[69:70]
	v_fma_f64 v[36:37], v[36:37], v[91:92], v[89:90]
	v_fma_f64 v[38:39], v[38:39], v[91:92], -v[93:94]
	v_add_f64 v[67:68], v[44:45], -v[40:41]
	v_fma_f64 v[12:13], v[12:13], v[83:84], v[85:86]
	v_add_f64 v[83:84], v[46:47], -v[42:43]
	v_add_f64 v[87:88], v[26:27], -v[6:7]
	v_fma_f64 v[28:29], v[28:29], v[79:80], v[63:64]
	v_add_f64 v[63:64], v[44:45], v[40:41]
	v_fma_f64 v[16:17], v[16:17], v[95:96], v[71:72]
	v_fma_f64 v[65:66], v[65:66], -0.5, v[30:31]
	v_fma_f64 v[18:19], v[18:19], v[95:96], -v[81:82]
	v_add_f64 v[69:70], v[24:25], v[4:5]
	v_fma_f64 v[0:1], v[0:1], v[99:100], v[73:74]
	v_fma_f64 v[2:3], v[2:3], v[99:100], -v[75:76]
	v_add_f64 v[71:72], v[24:25], -v[4:5]
	v_fma_f64 v[73:74], v[77:78], -0.5, v[14:15]
	v_add_f64 v[75:76], v[20:21], v[32:33]
	v_add_f64 v[81:82], v[22:23], v[34:35]
	;; [unrolled: 1-line block ×3, first 2 shown]
	v_add_f64 v[79:80], v[34:35], -v[38:39]
	v_add_f64 v[34:35], v[34:35], v[38:39]
	v_add_f64 v[30:31], v[30:31], v[46:47]
	v_add_f64 v[32:33], v[32:33], -v[36:37]
	v_add_f64 v[24:25], v[12:13], v[24:25]
	v_add_f64 v[26:27], v[14:15], v[26:27]
	v_fma_f64 v[63:64], v[63:64], -0.5, v[28:29]
	v_add_f64 v[28:29], v[28:29], v[44:45]
	v_fma_f64 v[85:86], v[67:68], s[6:7], v[65:66]
	v_fma_f64 v[65:66], v[67:68], s[4:5], v[65:66]
	v_fma_f64 v[69:70], v[69:70], -0.5, v[12:13]
	v_add_f64 v[44:45], v[16:17], v[0:1]
	v_add_f64 v[67:68], v[18:19], v[2:3]
	v_add_f64 v[89:90], v[18:19], -v[2:3]
	v_fma_f64 v[46:47], v[71:72], s[6:7], v[73:74]
	v_fma_f64 v[71:72], v[71:72], s[4:5], v[73:74]
	v_add_f64 v[73:74], v[8:9], v[16:17]
	v_add_f64 v[18:19], v[10:11], v[18:19]
	v_add_f64 v[91:92], v[16:17], -v[0:1]
	v_add_f64 v[75:76], v[75:76], v[36:37]
	v_fma_f64 v[20:21], v[77:78], -0.5, v[20:21]
	v_add_f64 v[77:78], v[81:82], v[38:39]
	v_fma_f64 v[34:35], v[34:35], -0.5, v[22:23]
	v_add_f64 v[42:43], v[30:31], v[42:43]
	v_add_f64 v[14:15], v[24:25], v[4:5]
	;; [unrolled: 1-line block ×3, first 2 shown]
	v_fma_f64 v[36:37], v[83:84], s[4:5], v[63:64]
	v_fma_f64 v[38:39], v[83:84], s[6:7], v[63:64]
	v_mul_f64 v[63:64], v[85:86], s[4:5]
	v_mul_f64 v[81:82], v[65:66], s[4:5]
	v_mul_f64 v[83:84], v[85:86], 0.5
	v_fma_f64 v[8:9], v[44:45], -0.5, v[8:9]
	v_fma_f64 v[10:11], v[67:68], -0.5, v[10:11]
	v_fma_f64 v[44:45], v[87:88], s[4:5], v[69:70]
	v_fma_f64 v[67:68], v[87:88], s[6:7], v[69:70]
	v_mul_f64 v[69:70], v[46:47], s[4:5]
	v_mul_f64 v[85:86], v[71:72], s[4:5]
	v_mul_f64 v[46:47], v[46:47], 0.5
	v_mul_f64 v[71:72], v[71:72], -0.5
	v_mul_f64 v[65:66], v[65:66], -0.5
	v_add_f64 v[40:41], v[28:29], v[40:41]
	v_add_f64 v[12:13], v[73:74], v[0:1]
	;; [unrolled: 1-line block ×3, first 2 shown]
	v_fma_f64 v[4:5], v[79:80], s[4:5], v[20:21]
	v_fma_f64 v[6:7], v[79:80], s[6:7], v[20:21]
	;; [unrolled: 1-line block ×4, first 2 shown]
	v_fma_f64 v[87:88], v[36:37], 0.5, v[63:64]
	v_fma_f64 v[81:82], v[38:39], -0.5, v[81:82]
	v_fma_f64 v[83:84], v[36:37], s[6:7], v[83:84]
	v_fma_f64 v[18:19], v[89:90], s[4:5], v[8:9]
	;; [unrolled: 1-line block ×5, first 2 shown]
	v_fma_f64 v[24:25], v[44:45], 0.5, v[69:70]
	v_fma_f64 v[26:27], v[67:68], -0.5, v[85:86]
	v_fma_f64 v[32:33], v[44:45], s[6:7], v[46:47]
	v_fma_f64 v[34:35], v[67:68], s[6:7], v[71:72]
	;; [unrolled: 1-line block ×3, first 2 shown]
	v_add_f64 v[36:37], v[75:76], v[40:41]
	v_add_f64 v[38:39], v[77:78], v[42:43]
	v_add_f64 v[0:1], v[12:13], -v[14:15]
	v_add_f64 v[2:3], v[16:17], -v[22:23]
	;; [unrolled: 1-line block ×4, first 2 shown]
	v_cndmask_b32_e64 v75, 0, 0x1680, s1
	v_lshlrev_b32_e32 v76, 4, v111
	v_add_f64 v[44:45], v[4:5], v[87:88]
	v_add_f64 v[63:64], v[6:7], v[81:82]
	v_add_f64 v[67:68], v[4:5], -v[87:88]
	v_add_f64 v[71:72], v[6:7], -v[81:82]
	v_add_f64 v[46:47], v[73:74], v[83:84]
	v_add_f64 v[69:70], v[73:74], -v[83:84]
	v_add_nc_u32_e32 v75, 0, v75
	v_add_f64 v[4:5], v[18:19], -v[24:25]
	v_add_f64 v[8:9], v[20:21], -v[26:27]
	;; [unrolled: 1-line block ×4, first 2 shown]
	v_add_f64 v[65:66], v[79:80], v[93:94]
	v_add_f64 v[73:74], v[79:80], -v[93:94]
	v_add3_u32 v75, v75, v76, v54
	ds_write_b128 v75, v[36:39]
	ds_write_b128 v75, v[44:47] offset:960
	ds_write_b128 v75, v[63:66] offset:1920
	;; [unrolled: 1-line block ×5, first 2 shown]
	s_and_saveexec_b32 s1, s0
	s_cbranch_execz .LBB0_25
; %bb.24:
	v_add_f64 v[16:17], v[16:17], v[22:23]
	v_add_f64 v[14:15], v[12:13], v[14:15]
	;; [unrolled: 1-line block ×6, first 2 shown]
	v_and_b32_e32 v12, 0xffff, v53
	v_mov_b32_e32 v13, 4
	v_mad_u32_u24 v12, 0x1680, v12, 0
	v_lshlrev_b32_sdwa v13, v13, v62 dst_sel:DWORD dst_unused:UNUSED_PAD src0_sel:DWORD src1_sel:BYTE_0
	v_add3_u32 v12, v12, v13, v54
	ds_write_b128 v12, v[0:3] offset:2880
	ds_write_b128 v12, v[4:7] offset:3840
	ds_write_b128 v12, v[14:17]
	ds_write_b128 v12, v[32:35] offset:960
	ds_write_b128 v12, v[28:31] offset:1920
	;; [unrolled: 1-line block ×3, first 2 shown]
.LBB0_25:
	s_or_b32 exec_lo, exec_lo, s1
	s_waitcnt lgkmcnt(0)
	s_barrier
	buffer_gl0_inv
	ds_read_b128 v[16:19], v58
	ds_read_b128 v[32:35], v57 offset:5760
	ds_read_b128 v[36:39], v57 offset:11520
	ds_read_b128 v[24:27], v57 offset:13248
	ds_read_b128 v[12:15], v59 offset:3456
	ds_read_b128 v[44:47], v57 offset:7488
	ds_read_b128 v[28:31], v57 offset:9216
	ds_read_b128 v[20:23], v59 offset:1728
	ds_read_b128 v[40:43], v57 offset:14976
	v_cmp_gt_u32_e64 s0, 36, v52
	s_and_saveexec_b32 s1, s0
	s_cbranch_execz .LBB0_27
; %bb.26:
	ds_read_b128 v[0:3], v59 offset:5184
	ds_read_b128 v[4:7], v57 offset:10944
	ds_read_b128 v[8:11], v57 offset:16704
.LBB0_27:
	s_or_b32 exec_lo, exec_lo, s1
	v_lshlrev_b32_e32 v53, 1, v52
	v_mov_b32_e32 v54, 0
	v_lshlrev_b32_e32 v61, 1, v61
	s_mov_b32 s6, s4
	v_lshlrev_b64 v[62:63], 4, v[53:54]
	v_add_nc_u32_e32 v53, 0x1b0, v53
	v_add_co_u32 v58, s1, s12, v62
	v_mov_b32_e32 v62, v54
	v_add_co_ci_u32_e64 v66, s1, s13, v63, s1
	v_add_co_u32 v63, s1, 0x1000, v58
	v_lshlrev_b64 v[69:70], 4, v[61:62]
	v_add_co_ci_u32_e64 v64, s1, 0, v66, s1
	v_add_co_u32 v65, s1, 0x1620, v58
	v_add_co_ci_u32_e64 v66, s1, 0, v66, s1
	v_add_co_u32 v58, s1, s12, v69
	v_add_co_ci_u32_e64 v71, s1, s13, v70, s1
	v_lshlrev_b64 v[69:70], 4, v[53:54]
	v_add_co_u32 v73, s1, 0x1620, v58
	v_add_co_ci_u32_e64 v74, s1, 0, v71, s1
	s_clause 0x1
	global_load_dwordx4 v[61:64], v[63:64], off offset:1568
	global_load_dwordx4 v[65:68], v[65:66], off offset:16
	v_add_co_u32 v53, s1, s12, v69
	v_add_co_ci_u32_e64 v72, s1, s13, v70, s1
	v_add_co_u32 v69, s1, 0x1000, v58
	v_add_co_ci_u32_e64 v70, s1, 0, v71, s1
	;; [unrolled: 2-line block ×4, first 2 shown]
	s_clause 0x3
	global_load_dwordx4 v[69:72], v[69:70], off offset:1568
	global_load_dwordx4 v[73:76], v[73:74], off offset:16
	;; [unrolled: 1-line block ×4, first 2 shown]
	v_lshl_add_u32 v53, v56, 4, v60
	s_waitcnt vmcnt(0) lgkmcnt(0)
	s_barrier
	buffer_gl0_inv
	v_add_nc_u32_e32 v56, 0x1800, v53
	v_add_nc_u32_e32 v58, 0x3000, v53
	;; [unrolled: 1-line block ×4, first 2 shown]
	v_mul_f64 v[85:86], v[34:35], v[63:64]
	v_mul_f64 v[87:88], v[38:39], v[67:68]
	;; [unrolled: 1-line block ×12, first 2 shown]
	v_fma_f64 v[32:33], v[32:33], v[61:62], v[85:86]
	v_fma_f64 v[36:37], v[36:37], v[65:66], v[87:88]
	v_fma_f64 v[34:35], v[34:35], v[61:62], -v[63:64]
	v_fma_f64 v[38:39], v[38:39], v[65:66], -v[67:68]
	v_fma_f64 v[44:45], v[44:45], v[69:70], v[89:90]
	v_fma_f64 v[24:25], v[24:25], v[73:74], v[91:92]
	v_fma_f64 v[46:47], v[46:47], v[69:70], -v[71:72]
	v_fma_f64 v[26:27], v[26:27], v[73:74], -v[75:76]
	;; [unrolled: 4-line block ×3, first 2 shown]
	v_add_f64 v[73:74], v[16:17], v[32:33]
	v_add_f64 v[61:62], v[32:33], v[36:37]
	v_add_f64 v[32:33], v[32:33], -v[36:37]
	v_add_f64 v[63:64], v[34:35], v[38:39]
	v_add_f64 v[75:76], v[34:35], -v[38:39]
	v_add_f64 v[34:35], v[18:19], v[34:35]
	v_add_f64 v[77:78], v[20:21], v[44:45]
	;; [unrolled: 1-line block ×5, first 2 shown]
	v_add_f64 v[46:47], v[46:47], -v[26:27]
	v_add_f64 v[69:70], v[28:29], v[40:41]
	v_add_f64 v[44:45], v[44:45], -v[24:25]
	v_add_f64 v[71:72], v[30:31], v[42:43]
	v_add_f64 v[81:82], v[12:13], v[28:29]
	v_fma_f64 v[61:62], v[61:62], -0.5, v[16:17]
	v_add_f64 v[83:84], v[14:15], v[30:31]
	v_fma_f64 v[63:64], v[63:64], -0.5, v[18:19]
	v_add_f64 v[85:86], v[30:31], -v[42:43]
	v_add_f64 v[87:88], v[28:29], -v[40:41]
	v_add_f64 v[16:17], v[77:78], v[24:25]
	v_fma_f64 v[65:66], v[65:66], -0.5, v[20:21]
	v_add_f64 v[18:19], v[79:80], v[26:27]
	v_fma_f64 v[67:68], v[67:68], -0.5, v[22:23]
	v_fma_f64 v[69:70], v[69:70], -0.5, v[12:13]
	v_add_f64 v[12:13], v[73:74], v[36:37]
	v_fma_f64 v[71:72], v[71:72], -0.5, v[14:15]
	v_add_f64 v[14:15], v[34:35], v[38:39]
	v_fma_f64 v[24:25], v[75:76], s[4:5], v[61:62]
	v_fma_f64 v[28:29], v[75:76], s[6:7], v[61:62]
	;; [unrolled: 1-line block ×4, first 2 shown]
	v_add_f64 v[20:21], v[81:82], v[40:41]
	v_add_f64 v[22:23], v[83:84], v[42:43]
	v_fma_f64 v[32:33], v[46:47], s[4:5], v[65:66]
	v_fma_f64 v[34:35], v[46:47], s[6:7], v[65:66]
	;; [unrolled: 1-line block ×8, first 2 shown]
	ds_write_b128 v57, v[12:15]
	ds_write_b128 v57, v[24:27] offset:5760
	ds_write_b128 v57, v[28:31] offset:11520
	;; [unrolled: 1-line block ×3, first 2 shown]
	ds_write2_b64 v56, v[32:33], v[36:37] offset0:168 offset1:169
	ds_write2_b64 v58, v[34:35], v[38:39] offset0:120 offset1:121
	ds_write_b128 v59, v[20:23] offset:3456
	ds_write2_b64 v60, v[40:41], v[44:45] offset0:128 offset1:129
	ds_write2_b64 v53, v[42:43], v[46:47] offset0:80 offset1:81
	s_and_saveexec_b32 s1, s0
	s_cbranch_execz .LBB0_29
; %bb.28:
	v_mov_b32_e32 v12, 0x144
	v_cndmask_b32_e64 v12, 0xffffffdc, v12, s0
	v_add_lshl_u32 v53, v52, v12, 1
	v_lshlrev_b64 v[12:13], 4, v[53:54]
	v_add_co_u32 v14, s0, s12, v12
	v_add_co_ci_u32_e64 v15, s0, s13, v13, s0
	v_add_co_u32 v12, s0, 0x1000, v14
	v_add_co_ci_u32_e64 v13, s0, 0, v15, s0
	;; [unrolled: 2-line block ×3, first 2 shown]
	s_clause 0x1
	global_load_dwordx4 v[12:15], v[12:13], off offset:1568
	global_load_dwordx4 v[16:19], v[16:17], off offset:16
	s_waitcnt vmcnt(1)
	v_mul_f64 v[20:21], v[4:5], v[14:15]
	s_waitcnt vmcnt(0)
	v_mul_f64 v[22:23], v[8:9], v[18:19]
	v_mul_f64 v[14:15], v[6:7], v[14:15]
	;; [unrolled: 1-line block ×3, first 2 shown]
	v_fma_f64 v[6:7], v[6:7], v[12:13], -v[20:21]
	v_fma_f64 v[10:11], v[10:11], v[16:17], -v[22:23]
	v_fma_f64 v[4:5], v[4:5], v[12:13], v[14:15]
	v_fma_f64 v[8:9], v[8:9], v[16:17], v[18:19]
	v_add_f64 v[18:19], v[2:3], v[6:7]
	v_add_f64 v[12:13], v[6:7], v[10:11]
	v_add_f64 v[20:21], v[6:7], -v[10:11]
	v_add_f64 v[14:15], v[4:5], v[8:9]
	v_add_f64 v[16:17], v[4:5], -v[8:9]
	v_add_f64 v[4:5], v[0:1], v[4:5]
	v_fma_f64 v[12:13], v[12:13], -0.5, v[2:3]
	v_add_f64 v[2:3], v[18:19], v[10:11]
	v_fma_f64 v[14:15], v[14:15], -0.5, v[0:1]
	v_add_f64 v[0:1], v[4:5], v[8:9]
	v_fma_f64 v[10:11], v[16:17], s[6:7], v[12:13]
	v_fma_f64 v[6:7], v[16:17], s[4:5], v[12:13]
	;; [unrolled: 1-line block ×4, first 2 shown]
	ds_write_b128 v57, v[0:3] offset:5184
	ds_write_b128 v57, v[8:11] offset:10944
	;; [unrolled: 1-line block ×3, first 2 shown]
.LBB0_29:
	s_or_b32 exec_lo, exec_lo, s1
	s_waitcnt lgkmcnt(0)
	s_barrier
	buffer_gl0_inv
	s_and_saveexec_b32 s0, vcc_lo
	s_cbranch_execz .LBB0_31
; %bb.30:
	v_mul_lo_u32 v2, s3, v50
	v_mul_lo_u32 v3, s2, v51
	v_mad_u64_u32 v[0:1], null, s2, v50, 0
	v_mov_b32_e32 v53, 0
	v_lshl_add_u32 v30, v52, 4, v55
	v_lshlrev_b64 v[12:13], 4, v[48:49]
	v_add_nc_u32_e32 v14, 0x6c, v52
	v_add_nc_u32_e32 v16, 0xd8, v52
	v_mov_b32_e32 v15, v53
	v_add3_u32 v1, v1, v3, v2
	v_lshlrev_b64 v[18:19], 4, v[52:53]
	v_mov_b32_e32 v17, v53
	v_add_nc_u32_e32 v28, 0x1b0, v52
	v_mov_b32_e32 v29, v53
	v_lshlrev_b64 v[8:9], 4, v[0:1]
	ds_read_b128 v[0:3], v30
	ds_read_b128 v[4:7], v30 offset:1728
	v_add_co_u32 v20, vcc_lo, s10, v8
	v_add_co_ci_u32_e32 v21, vcc_lo, s11, v9, vcc_lo
	ds_read_b128 v[8:11], v30 offset:3456
	v_add_co_u32 v31, vcc_lo, v20, v12
	v_add_co_ci_u32_e32 v32, vcc_lo, v21, v13, vcc_lo
	v_lshlrev_b64 v[12:13], 4, v[14:15]
	v_add_co_u32 v20, vcc_lo, v31, v18
	v_lshlrev_b64 v[14:15], 4, v[16:17]
	v_add_nc_u32_e32 v16, 0x144, v52
	v_add_co_ci_u32_e32 v21, vcc_lo, v32, v19, vcc_lo
	v_add_co_u32 v22, vcc_lo, v31, v12
	v_add_co_ci_u32_e32 v23, vcc_lo, v32, v13, vcc_lo
	v_lshlrev_b64 v[26:27], 4, v[16:17]
	ds_read_b128 v[16:19], v30 offset:6912
	v_add_co_u32 v24, vcc_lo, v31, v14
	v_add_co_ci_u32_e32 v25, vcc_lo, v32, v15, vcc_lo
	ds_read_b128 v[12:15], v30 offset:5184
	s_waitcnt lgkmcnt(4)
	global_store_dwordx4 v[20:21], v[0:3], off
	s_waitcnt lgkmcnt(3)
	global_store_dwordx4 v[22:23], v[4:7], off
	;; [unrolled: 2-line block ×3, first 2 shown]
	v_lshlrev_b64 v[0:1], 4, v[28:29]
	v_add_co_u32 v2, vcc_lo, v31, v26
	v_add_co_ci_u32_e32 v3, vcc_lo, v32, v27, vcc_lo
	v_add_nc_u32_e32 v4, 0x21c, v52
	v_mov_b32_e32 v5, v53
	v_add_co_u32 v6, vcc_lo, v31, v0
	v_add_co_ci_u32_e32 v7, vcc_lo, v32, v1, vcc_lo
	v_add_nc_u32_e32 v8, 0x288, v52
	v_mov_b32_e32 v9, v53
	v_lshlrev_b64 v[4:5], 4, v[4:5]
	s_waitcnt lgkmcnt(1)
	global_store_dwordx4 v[6:7], v[16:19], off
	v_add_nc_u32_e32 v24, 0x360, v52
	v_mov_b32_e32 v25, v53
	v_lshlrev_b64 v[6:7], 4, v[8:9]
	s_waitcnt lgkmcnt(0)
	global_store_dwordx4 v[2:3], v[12:15], off
	v_add_co_u32 v20, vcc_lo, v31, v4
	v_add_nc_u32_e32 v12, 0x2f4, v52
	v_mov_b32_e32 v13, v53
	v_add_co_ci_u32_e32 v21, vcc_lo, v32, v5, vcc_lo
	v_add_co_u32 v22, vcc_lo, v31, v6
	ds_read_b128 v[0:3], v30 offset:8640
	v_add_co_ci_u32_e32 v23, vcc_lo, v32, v7, vcc_lo
	ds_read_b128 v[4:7], v30 offset:10368
	ds_read_b128 v[8:11], v30 offset:12096
	v_lshlrev_b64 v[26:27], 4, v[12:13]
	ds_read_b128 v[12:15], v30 offset:13824
	ds_read_b128 v[16:19], v30 offset:15552
	v_add_nc_u32_e32 v52, 0x3cc, v52
	v_lshlrev_b64 v[24:25], 4, v[24:25]
	v_add_co_u32 v26, vcc_lo, v31, v26
	v_lshlrev_b64 v[28:29], 4, v[52:53]
	v_add_co_ci_u32_e32 v27, vcc_lo, v32, v27, vcc_lo
	v_add_co_u32 v24, vcc_lo, v31, v24
	v_add_co_ci_u32_e32 v25, vcc_lo, v32, v25, vcc_lo
	v_add_co_u32 v28, vcc_lo, v31, v28
	v_add_co_ci_u32_e32 v29, vcc_lo, v32, v29, vcc_lo
	s_waitcnt lgkmcnt(4)
	global_store_dwordx4 v[20:21], v[0:3], off
	s_waitcnt lgkmcnt(3)
	global_store_dwordx4 v[22:23], v[4:7], off
	;; [unrolled: 2-line block ×5, first 2 shown]
.LBB0_31:
	s_endpgm
	.section	.rodata,"a",@progbits
	.p2align	6, 0x0
	.amdhsa_kernel fft_rtc_back_len1080_factors_6_10_6_3_wgs_216_tpt_108_halfLds_dp_op_CI_CI_unitstride_sbrr_C2R_dirReg
		.amdhsa_group_segment_fixed_size 0
		.amdhsa_private_segment_fixed_size 0
		.amdhsa_kernarg_size 104
		.amdhsa_user_sgpr_count 6
		.amdhsa_user_sgpr_private_segment_buffer 1
		.amdhsa_user_sgpr_dispatch_ptr 0
		.amdhsa_user_sgpr_queue_ptr 0
		.amdhsa_user_sgpr_kernarg_segment_ptr 1
		.amdhsa_user_sgpr_dispatch_id 0
		.amdhsa_user_sgpr_flat_scratch_init 0
		.amdhsa_user_sgpr_private_segment_size 0
		.amdhsa_wavefront_size32 1
		.amdhsa_uses_dynamic_stack 0
		.amdhsa_system_sgpr_private_segment_wavefront_offset 0
		.amdhsa_system_sgpr_workgroup_id_x 1
		.amdhsa_system_sgpr_workgroup_id_y 0
		.amdhsa_system_sgpr_workgroup_id_z 0
		.amdhsa_system_sgpr_workgroup_info 0
		.amdhsa_system_vgpr_workitem_id 0
		.amdhsa_next_free_vgpr 112
		.amdhsa_next_free_sgpr 27
		.amdhsa_reserve_vcc 1
		.amdhsa_reserve_flat_scratch 0
		.amdhsa_float_round_mode_32 0
		.amdhsa_float_round_mode_16_64 0
		.amdhsa_float_denorm_mode_32 3
		.amdhsa_float_denorm_mode_16_64 3
		.amdhsa_dx10_clamp 1
		.amdhsa_ieee_mode 1
		.amdhsa_fp16_overflow 0
		.amdhsa_workgroup_processor_mode 1
		.amdhsa_memory_ordered 1
		.amdhsa_forward_progress 0
		.amdhsa_shared_vgpr_count 0
		.amdhsa_exception_fp_ieee_invalid_op 0
		.amdhsa_exception_fp_denorm_src 0
		.amdhsa_exception_fp_ieee_div_zero 0
		.amdhsa_exception_fp_ieee_overflow 0
		.amdhsa_exception_fp_ieee_underflow 0
		.amdhsa_exception_fp_ieee_inexact 0
		.amdhsa_exception_int_div_zero 0
	.end_amdhsa_kernel
	.text
.Lfunc_end0:
	.size	fft_rtc_back_len1080_factors_6_10_6_3_wgs_216_tpt_108_halfLds_dp_op_CI_CI_unitstride_sbrr_C2R_dirReg, .Lfunc_end0-fft_rtc_back_len1080_factors_6_10_6_3_wgs_216_tpt_108_halfLds_dp_op_CI_CI_unitstride_sbrr_C2R_dirReg
                                        ; -- End function
	.section	.AMDGPU.csdata,"",@progbits
; Kernel info:
; codeLenInByte = 9548
; NumSgprs: 29
; NumVgprs: 112
; ScratchSize: 0
; MemoryBound: 0
; FloatMode: 240
; IeeeMode: 1
; LDSByteSize: 0 bytes/workgroup (compile time only)
; SGPRBlocks: 3
; VGPRBlocks: 13
; NumSGPRsForWavesPerEU: 29
; NumVGPRsForWavesPerEU: 112
; Occupancy: 9
; WaveLimiterHint : 1
; COMPUTE_PGM_RSRC2:SCRATCH_EN: 0
; COMPUTE_PGM_RSRC2:USER_SGPR: 6
; COMPUTE_PGM_RSRC2:TRAP_HANDLER: 0
; COMPUTE_PGM_RSRC2:TGID_X_EN: 1
; COMPUTE_PGM_RSRC2:TGID_Y_EN: 0
; COMPUTE_PGM_RSRC2:TGID_Z_EN: 0
; COMPUTE_PGM_RSRC2:TIDIG_COMP_CNT: 0
	.text
	.p2alignl 6, 3214868480
	.fill 48, 4, 3214868480
	.type	__hip_cuid_e3e63dcb0f3e1f68,@object ; @__hip_cuid_e3e63dcb0f3e1f68
	.section	.bss,"aw",@nobits
	.globl	__hip_cuid_e3e63dcb0f3e1f68
__hip_cuid_e3e63dcb0f3e1f68:
	.byte	0                               ; 0x0
	.size	__hip_cuid_e3e63dcb0f3e1f68, 1

	.ident	"AMD clang version 19.0.0git (https://github.com/RadeonOpenCompute/llvm-project roc-6.4.0 25133 c7fe45cf4b819c5991fe208aaa96edf142730f1d)"
	.section	".note.GNU-stack","",@progbits
	.addrsig
	.addrsig_sym __hip_cuid_e3e63dcb0f3e1f68
	.amdgpu_metadata
---
amdhsa.kernels:
  - .args:
      - .actual_access:  read_only
        .address_space:  global
        .offset:         0
        .size:           8
        .value_kind:     global_buffer
      - .offset:         8
        .size:           8
        .value_kind:     by_value
      - .actual_access:  read_only
        .address_space:  global
        .offset:         16
        .size:           8
        .value_kind:     global_buffer
      - .actual_access:  read_only
        .address_space:  global
        .offset:         24
        .size:           8
        .value_kind:     global_buffer
      - .actual_access:  read_only
        .address_space:  global
        .offset:         32
        .size:           8
        .value_kind:     global_buffer
      - .offset:         40
        .size:           8
        .value_kind:     by_value
      - .actual_access:  read_only
        .address_space:  global
        .offset:         48
        .size:           8
        .value_kind:     global_buffer
      - .actual_access:  read_only
        .address_space:  global
        .offset:         56
        .size:           8
        .value_kind:     global_buffer
      - .offset:         64
        .size:           4
        .value_kind:     by_value
      - .actual_access:  read_only
        .address_space:  global
        .offset:         72
        .size:           8
        .value_kind:     global_buffer
      - .actual_access:  read_only
        .address_space:  global
        .offset:         80
        .size:           8
        .value_kind:     global_buffer
      - .actual_access:  read_only
        .address_space:  global
        .offset:         88
        .size:           8
        .value_kind:     global_buffer
      - .actual_access:  write_only
        .address_space:  global
        .offset:         96
        .size:           8
        .value_kind:     global_buffer
    .group_segment_fixed_size: 0
    .kernarg_segment_align: 8
    .kernarg_segment_size: 104
    .language:       OpenCL C
    .language_version:
      - 2
      - 0
    .max_flat_workgroup_size: 216
    .name:           fft_rtc_back_len1080_factors_6_10_6_3_wgs_216_tpt_108_halfLds_dp_op_CI_CI_unitstride_sbrr_C2R_dirReg
    .private_segment_fixed_size: 0
    .sgpr_count:     29
    .sgpr_spill_count: 0
    .symbol:         fft_rtc_back_len1080_factors_6_10_6_3_wgs_216_tpt_108_halfLds_dp_op_CI_CI_unitstride_sbrr_C2R_dirReg.kd
    .uniform_work_group_size: 1
    .uses_dynamic_stack: false
    .vgpr_count:     112
    .vgpr_spill_count: 0
    .wavefront_size: 32
    .workgroup_processor_mode: 1
amdhsa.target:   amdgcn-amd-amdhsa--gfx1030
amdhsa.version:
  - 1
  - 2
...

	.end_amdgpu_metadata
